;; amdgpu-corpus repo=ROCm/rocFFT kind=compiled arch=gfx906 opt=O3
	.text
	.amdgcn_target "amdgcn-amd-amdhsa--gfx906"
	.amdhsa_code_object_version 6
	.protected	fft_rtc_fwd_len850_factors_10_5_17_wgs_85_tpt_85_half_op_CI_CI_unitstride_sbrr_R2C_dirReg ; -- Begin function fft_rtc_fwd_len850_factors_10_5_17_wgs_85_tpt_85_half_op_CI_CI_unitstride_sbrr_R2C_dirReg
	.globl	fft_rtc_fwd_len850_factors_10_5_17_wgs_85_tpt_85_half_op_CI_CI_unitstride_sbrr_R2C_dirReg
	.p2align	8
	.type	fft_rtc_fwd_len850_factors_10_5_17_wgs_85_tpt_85_half_op_CI_CI_unitstride_sbrr_R2C_dirReg,@function
fft_rtc_fwd_len850_factors_10_5_17_wgs_85_tpt_85_half_op_CI_CI_unitstride_sbrr_R2C_dirReg: ; @fft_rtc_fwd_len850_factors_10_5_17_wgs_85_tpt_85_half_op_CI_CI_unitstride_sbrr_R2C_dirReg
; %bb.0:
	s_load_dwordx4 s[8:11], s[4:5], 0x58
	s_load_dwordx4 s[12:15], s[4:5], 0x0
	;; [unrolled: 1-line block ×3, first 2 shown]
	v_mul_u32_u24_e32 v1, 0x304, v0
	v_mov_b32_e32 v5, 0
	v_mov_b32_e32 v8, 0
	s_waitcnt lgkmcnt(0)
	v_cmp_lt_u64_e64 s[0:1], s[14:15], 2
	v_add_u32_sdwa v10, s6, v1 dst_sel:DWORD dst_unused:UNUSED_PAD src0_sel:DWORD src1_sel:WORD_1
	v_mov_b32_e32 v11, v5
	s_and_b64 vcc, exec, s[0:1]
	v_mov_b32_e32 v9, 0
	s_cbranch_vccnz .LBB0_8
; %bb.1:
	s_load_dwordx2 s[0:1], s[4:5], 0x10
	s_add_u32 s2, s18, 8
	s_addc_u32 s3, s19, 0
	s_add_u32 s6, s16, 8
	s_addc_u32 s7, s17, 0
	v_mov_b32_e32 v8, 0
	s_waitcnt lgkmcnt(0)
	s_add_u32 s20, s0, 8
	v_mov_b32_e32 v9, 0
	v_mov_b32_e32 v1, v8
	s_addc_u32 s21, s1, 0
	s_mov_b64 s[22:23], 1
	v_mov_b32_e32 v2, v9
.LBB0_2:                                ; =>This Inner Loop Header: Depth=1
	s_load_dwordx2 s[24:25], s[20:21], 0x0
                                        ; implicit-def: $vgpr3_vgpr4
	s_waitcnt lgkmcnt(0)
	v_or_b32_e32 v6, s25, v11
	v_cmp_ne_u64_e32 vcc, 0, v[5:6]
	s_and_saveexec_b64 s[0:1], vcc
	s_xor_b64 s[26:27], exec, s[0:1]
	s_cbranch_execz .LBB0_4
; %bb.3:                                ;   in Loop: Header=BB0_2 Depth=1
	v_cvt_f32_u32_e32 v3, s24
	v_cvt_f32_u32_e32 v4, s25
	s_sub_u32 s0, 0, s24
	s_subb_u32 s1, 0, s25
	v_mac_f32_e32 v3, 0x4f800000, v4
	v_rcp_f32_e32 v3, v3
	v_mul_f32_e32 v3, 0x5f7ffffc, v3
	v_mul_f32_e32 v4, 0x2f800000, v3
	v_trunc_f32_e32 v4, v4
	v_mac_f32_e32 v3, 0xcf800000, v4
	v_cvt_u32_f32_e32 v4, v4
	v_cvt_u32_f32_e32 v3, v3
	v_mul_lo_u32 v6, s0, v4
	v_mul_hi_u32 v7, s0, v3
	v_mul_lo_u32 v13, s1, v3
	v_mul_lo_u32 v12, s0, v3
	v_add_u32_e32 v6, v7, v6
	v_add_u32_e32 v6, v6, v13
	v_mul_hi_u32 v7, v3, v12
	v_mul_lo_u32 v13, v3, v6
	v_mul_hi_u32 v15, v3, v6
	v_mul_hi_u32 v14, v4, v12
	v_mul_lo_u32 v12, v4, v12
	v_mul_hi_u32 v16, v4, v6
	v_add_co_u32_e32 v7, vcc, v7, v13
	v_addc_co_u32_e32 v13, vcc, 0, v15, vcc
	v_mul_lo_u32 v6, v4, v6
	v_add_co_u32_e32 v7, vcc, v7, v12
	v_addc_co_u32_e32 v7, vcc, v13, v14, vcc
	v_addc_co_u32_e32 v12, vcc, 0, v16, vcc
	v_add_co_u32_e32 v6, vcc, v7, v6
	v_addc_co_u32_e32 v7, vcc, 0, v12, vcc
	v_add_co_u32_e32 v3, vcc, v3, v6
	v_addc_co_u32_e32 v4, vcc, v4, v7, vcc
	v_mul_lo_u32 v6, s0, v4
	v_mul_hi_u32 v7, s0, v3
	v_mul_lo_u32 v12, s1, v3
	v_mul_lo_u32 v13, s0, v3
	v_add_u32_e32 v6, v7, v6
	v_add_u32_e32 v6, v6, v12
	v_mul_lo_u32 v14, v3, v6
	v_mul_hi_u32 v15, v3, v13
	v_mul_hi_u32 v16, v3, v6
	v_mul_hi_u32 v12, v4, v13
	v_mul_lo_u32 v13, v4, v13
	v_mul_hi_u32 v7, v4, v6
	v_add_co_u32_e32 v14, vcc, v15, v14
	v_addc_co_u32_e32 v15, vcc, 0, v16, vcc
	v_mul_lo_u32 v6, v4, v6
	v_add_co_u32_e32 v13, vcc, v14, v13
	v_addc_co_u32_e32 v12, vcc, v15, v12, vcc
	v_addc_co_u32_e32 v7, vcc, 0, v7, vcc
	v_add_co_u32_e32 v6, vcc, v12, v6
	v_addc_co_u32_e32 v7, vcc, 0, v7, vcc
	v_add_co_u32_e32 v6, vcc, v3, v6
	v_addc_co_u32_e32 v7, vcc, v4, v7, vcc
	v_mad_u64_u32 v[3:4], s[0:1], v10, v7, 0
	v_mul_hi_u32 v12, v10, v6
	v_add_co_u32_e32 v12, vcc, v12, v3
	v_addc_co_u32_e32 v13, vcc, 0, v4, vcc
	v_mad_u64_u32 v[3:4], s[0:1], v11, v6, 0
	v_mad_u64_u32 v[6:7], s[0:1], v11, v7, 0
	v_add_co_u32_e32 v3, vcc, v12, v3
	v_addc_co_u32_e32 v3, vcc, v13, v4, vcc
	v_addc_co_u32_e32 v4, vcc, 0, v7, vcc
	v_add_co_u32_e32 v6, vcc, v3, v6
	v_addc_co_u32_e32 v7, vcc, 0, v4, vcc
	v_mul_lo_u32 v12, s25, v6
	v_mul_lo_u32 v13, s24, v7
	v_mad_u64_u32 v[3:4], s[0:1], s24, v6, 0
	v_add3_u32 v4, v4, v13, v12
	v_sub_u32_e32 v12, v11, v4
	v_mov_b32_e32 v13, s25
	v_sub_co_u32_e32 v3, vcc, v10, v3
	v_subb_co_u32_e64 v12, s[0:1], v12, v13, vcc
	v_subrev_co_u32_e64 v13, s[0:1], s24, v3
	v_subbrev_co_u32_e64 v12, s[0:1], 0, v12, s[0:1]
	v_cmp_le_u32_e64 s[0:1], s25, v12
	v_cndmask_b32_e64 v14, 0, -1, s[0:1]
	v_cmp_le_u32_e64 s[0:1], s24, v13
	v_cndmask_b32_e64 v13, 0, -1, s[0:1]
	v_cmp_eq_u32_e64 s[0:1], s25, v12
	v_cndmask_b32_e64 v12, v14, v13, s[0:1]
	v_add_co_u32_e64 v13, s[0:1], 2, v6
	v_addc_co_u32_e64 v14, s[0:1], 0, v7, s[0:1]
	v_add_co_u32_e64 v15, s[0:1], 1, v6
	v_addc_co_u32_e64 v16, s[0:1], 0, v7, s[0:1]
	v_subb_co_u32_e32 v4, vcc, v11, v4, vcc
	v_cmp_ne_u32_e64 s[0:1], 0, v12
	v_cmp_le_u32_e32 vcc, s25, v4
	v_cndmask_b32_e64 v12, v16, v14, s[0:1]
	v_cndmask_b32_e64 v14, 0, -1, vcc
	v_cmp_le_u32_e32 vcc, s24, v3
	v_cndmask_b32_e64 v3, 0, -1, vcc
	v_cmp_eq_u32_e32 vcc, s25, v4
	v_cndmask_b32_e32 v3, v14, v3, vcc
	v_cmp_ne_u32_e32 vcc, 0, v3
	v_cndmask_b32_e64 v3, v15, v13, s[0:1]
	v_cndmask_b32_e32 v4, v7, v12, vcc
	v_cndmask_b32_e32 v3, v6, v3, vcc
.LBB0_4:                                ;   in Loop: Header=BB0_2 Depth=1
	s_andn2_saveexec_b64 s[0:1], s[26:27]
	s_cbranch_execz .LBB0_6
; %bb.5:                                ;   in Loop: Header=BB0_2 Depth=1
	v_cvt_f32_u32_e32 v3, s24
	s_sub_i32 s26, 0, s24
	v_rcp_iflag_f32_e32 v3, v3
	v_mul_f32_e32 v3, 0x4f7ffffe, v3
	v_cvt_u32_f32_e32 v3, v3
	v_mul_lo_u32 v4, s26, v3
	v_mul_hi_u32 v4, v3, v4
	v_add_u32_e32 v3, v3, v4
	v_mul_hi_u32 v3, v10, v3
	v_mul_lo_u32 v4, v3, s24
	v_add_u32_e32 v6, 1, v3
	v_sub_u32_e32 v4, v10, v4
	v_subrev_u32_e32 v7, s24, v4
	v_cmp_le_u32_e32 vcc, s24, v4
	v_cndmask_b32_e32 v4, v4, v7, vcc
	v_cndmask_b32_e32 v3, v3, v6, vcc
	v_add_u32_e32 v6, 1, v3
	v_cmp_le_u32_e32 vcc, s24, v4
	v_cndmask_b32_e32 v3, v3, v6, vcc
	v_mov_b32_e32 v4, v5
.LBB0_6:                                ;   in Loop: Header=BB0_2 Depth=1
	s_or_b64 exec, exec, s[0:1]
	v_mul_lo_u32 v12, v4, s24
	v_mul_lo_u32 v13, v3, s25
	v_mad_u64_u32 v[6:7], s[0:1], v3, s24, 0
	s_load_dwordx2 s[0:1], s[6:7], 0x0
	s_load_dwordx2 s[24:25], s[2:3], 0x0
	v_add3_u32 v7, v7, v13, v12
	v_sub_co_u32_e32 v6, vcc, v10, v6
	v_subb_co_u32_e32 v7, vcc, v11, v7, vcc
	s_waitcnt lgkmcnt(0)
	v_mul_lo_u32 v10, s0, v7
	v_mul_lo_u32 v11, s1, v6
	v_mad_u64_u32 v[8:9], s[0:1], s0, v6, v[8:9]
	v_mul_lo_u32 v7, s24, v7
	v_mul_lo_u32 v12, s25, v6
	v_mad_u64_u32 v[1:2], s[0:1], s24, v6, v[1:2]
	s_add_u32 s22, s22, 1
	s_addc_u32 s23, s23, 0
	s_add_u32 s2, s2, 8
	v_add3_u32 v2, v12, v2, v7
	s_addc_u32 s3, s3, 0
	v_mov_b32_e32 v6, s14
	s_add_u32 s6, s6, 8
	v_mov_b32_e32 v7, s15
	s_addc_u32 s7, s7, 0
	v_cmp_ge_u64_e32 vcc, s[22:23], v[6:7]
	s_add_u32 s20, s20, 8
	v_add3_u32 v9, v11, v9, v10
	s_addc_u32 s21, s21, 0
	s_cbranch_vccnz .LBB0_9
; %bb.7:                                ;   in Loop: Header=BB0_2 Depth=1
	v_mov_b32_e32 v11, v4
	v_mov_b32_e32 v10, v3
	s_branch .LBB0_2
.LBB0_8:
	v_mov_b32_e32 v1, v8
	v_mov_b32_e32 v3, v10
	;; [unrolled: 1-line block ×4, first 2 shown]
.LBB0_9:
	s_load_dwordx2 s[0:1], s[4:5], 0x28
	s_lshl_b64 s[6:7], s[14:15], 3
	s_add_u32 s2, s18, s6
	s_addc_u32 s3, s19, s7
                                        ; implicit-def: $vgpr5
                                        ; implicit-def: $vgpr7
	s_waitcnt lgkmcnt(0)
	v_cmp_gt_u64_e32 vcc, s[0:1], v[3:4]
	v_cmp_le_u64_e64 s[0:1], s[0:1], v[3:4]
	s_and_saveexec_b64 s[4:5], s[0:1]
	s_xor_b64 s[0:1], exec, s[4:5]
; %bb.10:
	s_mov_b32 s4, 0x3030304
	v_mul_hi_u32 v5, v0, s4
                                        ; implicit-def: $vgpr8_vgpr9
	v_mul_u32_u24_e32 v5, 0x55, v5
	v_sub_u32_e32 v5, v0, v5
	v_add_u32_e32 v7, 0x55, v5
                                        ; implicit-def: $vgpr0
; %bb.11:
	s_andn2_saveexec_b64 s[4:5], s[0:1]
	s_cbranch_execz .LBB0_13
; %bb.12:
	s_add_u32 s0, s16, s6
	s_addc_u32 s1, s17, s7
	s_load_dwordx2 s[0:1], s[0:1], 0x0
	s_mov_b32 s6, 0x3030304
	v_mul_hi_u32 v5, v0, s6
	s_waitcnt lgkmcnt(0)
	v_mul_lo_u32 v10, s1, v3
	v_mul_lo_u32 v11, s0, v4
	v_mad_u64_u32 v[6:7], s[0:1], s0, v3, 0
	v_mul_u32_u24_e32 v5, 0x55, v5
	v_sub_u32_e32 v5, v0, v5
	v_add3_u32 v7, v7, v11, v10
	v_lshlrev_b64 v[6:7], 2, v[6:7]
	v_mov_b32_e32 v0, s9
	v_add_co_u32_e64 v10, s[0:1], s8, v6
	v_addc_co_u32_e64 v0, s[0:1], v0, v7, s[0:1]
	v_lshlrev_b64 v[6:7], 2, v[8:9]
	v_lshlrev_b32_e32 v8, 2, v5
	v_add_co_u32_e64 v6, s[0:1], v10, v6
	v_addc_co_u32_e64 v0, s[0:1], v0, v7, s[0:1]
	v_add_co_u32_e64 v6, s[0:1], v6, v8
	v_addc_co_u32_e64 v7, s[0:1], 0, v0, s[0:1]
	global_load_dword v0, v[6:7], off
	global_load_dword v9, v[6:7], off offset:340
	global_load_dword v10, v[6:7], off offset:680
	;; [unrolled: 1-line block ×9, first 2 shown]
	v_add_u32_e32 v7, 0x55, v5
	v_add_u32_e32 v6, 0, v8
	;; [unrolled: 1-line block ×5, first 2 shown]
	s_waitcnt vmcnt(8)
	ds_write2_b32 v6, v0, v9 offset1:85
	s_waitcnt vmcnt(6)
	ds_write2_b32 v6, v10, v11 offset0:170 offset1:255
	s_waitcnt vmcnt(4)
	ds_write2_b32 v8, v12, v13 offset0:84 offset1:169
	;; [unrolled: 2-line block ×4, first 2 shown]
.LBB0_13:
	s_or_b64 exec, exec, s[4:5]
	v_lshl_add_u32 v0, v5, 2, 0
	v_add_u32_e32 v20, 0x400, v0
	v_add_u32_e32 v18, 0x600, v0
	s_load_dwordx2 s[2:3], s[2:3], 0x0
	s_waitcnt lgkmcnt(0)
	s_barrier
	ds_read2_b32 v[8:9], v20 offset0:84 offset1:169
	ds_read2_b32 v[10:11], v18 offset0:126 offset1:211
	ds_read2_b32 v[12:13], v0 offset0:170 offset1:255
	ds_read2_b32 v[14:15], v0 offset1:85
	v_add_u32_e32 v22, 0x800, v0
	s_movk_i32 s0, 0x3b9c
	s_mov_b32 s5, 0xbb9c
	s_waitcnt lgkmcnt(2)
	v_add_f16_e32 v6, v8, v10
	s_waitcnt lgkmcnt(0)
	v_pk_add_f16 v16, v14, v12
	v_pk_add_f16 v24, v16, v8
	;; [unrolled: 1-line block ×4, first 2 shown]
	ds_read2_b32 v[16:17], v22 offset0:168 offset1:253
	v_pk_add_f16 v24, v24, v10
	v_fma_f16 v6, v6, -0.5, v14
	v_sub_f16_sdwa v19, v8, v10 dst_sel:DWORD dst_unused:UNUSED_PAD src0_sel:WORD_1 src1_sel:WORD_1
	v_sub_f16_e32 v21, v12, v8
	s_waitcnt lgkmcnt(0)
	v_sub_f16_sdwa v36, v12, v16 dst_sel:DWORD dst_unused:UNUSED_PAD src0_sel:WORD_1 src1_sel:WORD_1
	v_sub_f16_e32 v23, v8, v12
	v_add_f16_sdwa v25, v8, v10 dst_sel:DWORD dst_unused:UNUSED_PAD src0_sel:WORD_1 src1_sel:WORD_1
	v_sub_f16_e32 v26, v8, v10
	v_sub_f16_sdwa v27, v12, v8 dst_sel:DWORD dst_unused:UNUSED_PAD src0_sel:WORD_1 src1_sel:WORD_1
	v_sub_f16_sdwa v8, v8, v12 dst_sel:DWORD dst_unused:UNUSED_PAD src0_sel:WORD_1 src1_sel:WORD_1
	v_add_f16_e32 v37, v12, v16
	v_sub_f16_e32 v38, v12, v16
	v_add_f16_sdwa v12, v12, v16 dst_sel:DWORD dst_unused:UNUSED_PAD src0_sel:WORD_1 src1_sel:WORD_1
	v_sub_f16_e32 v42, v16, v10
	v_sub_f16_e32 v43, v10, v16
	v_sub_f16_sdwa v44, v16, v10 dst_sel:DWORD dst_unused:UNUSED_PAD src0_sel:WORD_1 src1_sel:WORD_1
	v_sub_f16_sdwa v10, v10, v16 dst_sel:DWORD dst_unused:UNUSED_PAD src0_sel:WORD_1 src1_sel:WORD_1
	v_pk_add_f16 v16, v24, v16
	s_movk_i32 s1, 0x38b4
	v_fma_f16 v24, v36, s0, v6
	v_fma_f16 v6, v36, s5, v6
	s_mov_b32 s6, 0xb8b4
	v_add_f16_e32 v21, v21, v42
	v_fma_f16 v24, v19, s1, v24
	s_movk_i32 s4, 0x34f2
	v_fma_f16 v6, v19, s6, v6
	v_pk_add_f16 v31, v31, v11
	v_fma_f16 v24, v21, s4, v24
	v_fma_f16 v6, v21, s4, v6
	v_add_f16_e32 v21, v23, v43
	v_fma_f16 v23, v37, -0.5, v14
	v_add_f16_e32 v28, v9, v11
	v_sub_f16_sdwa v29, v9, v11 dst_sel:DWORD dst_unused:UNUSED_PAD src0_sel:WORD_1 src1_sel:WORD_1
	v_sub_f16_e32 v30, v13, v9
	v_sub_f16_e32 v32, v9, v13
	v_add_f16_sdwa v33, v9, v11 dst_sel:DWORD dst_unused:UNUSED_PAD src0_sel:WORD_1 src1_sel:WORD_1
	v_sub_f16_e32 v34, v9, v11
	v_sub_f16_sdwa v35, v13, v9 dst_sel:DWORD dst_unused:UNUSED_PAD src0_sel:WORD_1 src1_sel:WORD_1
	v_sub_f16_sdwa v9, v9, v13 dst_sel:DWORD dst_unused:UNUSED_PAD src0_sel:WORD_1 src1_sel:WORD_1
	;; [unrolled: 1-line block ×3, first 2 shown]
	v_add_f16_e32 v40, v13, v17
	v_sub_f16_e32 v41, v13, v17
	v_add_f16_sdwa v13, v13, v17 dst_sel:DWORD dst_unused:UNUSED_PAD src0_sel:WORD_1 src1_sel:WORD_1
	v_sub_f16_e32 v45, v17, v11
	v_sub_f16_e32 v46, v11, v17
	v_sub_f16_sdwa v47, v17, v11 dst_sel:DWORD dst_unused:UNUSED_PAD src0_sel:WORD_1 src1_sel:WORD_1
	v_sub_f16_sdwa v11, v11, v17 dst_sel:DWORD dst_unused:UNUSED_PAD src0_sel:WORD_1 src1_sel:WORD_1
	v_pk_add_f16 v17, v31, v17
	v_fma_f16 v31, v19, s5, v23
	v_fma_f16 v19, v19, s0, v23
	v_lshrrev_b32_e32 v14, 16, v14
	v_fma_f16 v23, v36, s1, v31
	v_fma_f16 v19, v36, s6, v19
	v_fma_f16 v25, v25, -0.5, v14
	v_fma_f16 v23, v21, s4, v23
	v_fma_f16 v19, v21, s4, v19
	v_add_f16_e32 v21, v27, v44
	v_fma_f16 v27, v38, s5, v25
	v_fma_f16 v25, v38, s0, v25
	v_fma_f16 v12, v12, -0.5, v14
	v_fma_f16 v27, v26, s6, v27
	v_fma_f16 v25, v26, s1, v25
	v_add_f16_e32 v8, v8, v10
	v_fma_f16 v10, v26, s0, v12
	v_fma_f16 v12, v26, s5, v12
	v_fma_f16 v14, v28, -0.5, v15
	v_fma_f16 v26, v40, -0.5, v15
	v_lshrrev_b32_e32 v15, 16, v15
	v_fma_f16 v27, v21, s4, v27
	v_fma_f16 v21, v21, s4, v25
	;; [unrolled: 1-line block ×6, first 2 shown]
	v_fma_f16 v13, v13, -0.5, v15
	v_fma_f16 v10, v8, s4, v10
	v_fma_f16 v8, v8, s4, v12
	v_add_f16_e32 v12, v30, v45
	v_fma_f16 v25, v29, s1, v25
	v_fma_f16 v14, v29, s6, v14
	v_fma_f16 v28, v29, s5, v26
	v_fma_f16 v26, v29, s0, v26
	v_fma_f16 v29, v33, -0.5, v15
	v_add_f16_e32 v9, v9, v11
	v_fma_f16 v11, v34, s0, v13
	v_fma_f16 v25, v12, s4, v25
	;; [unrolled: 1-line block ×3, first 2 shown]
	v_add_f16_e32 v14, v32, v46
	v_fma_f16 v28, v39, s1, v28
	v_fma_f16 v26, v39, s6, v26
	;; [unrolled: 1-line block ×7, first 2 shown]
	v_add_f16_e32 v26, v35, v47
	v_fma_f16 v30, v34, s6, v30
	v_fma_f16 v29, v34, s1, v29
	;; [unrolled: 1-line block ×6, first 2 shown]
	v_mul_f16_e32 v29, 0x3b9c, v11
	v_fma_f16 v13, v41, s1, v13
	v_fma_f16 v29, v28, s4, v29
	v_mul_f16_e32 v28, 0xbb9c, v28
	v_fma_f16 v9, v9, s4, v13
	v_fma_f16 v11, v11, s4, v28
	v_mul_f16_e32 v28, 0x34f2, v14
	v_fma_f16 v28, v9, s0, -v28
	v_mul_f16_e32 v9, 0x34f2, v9
	v_fma_f16 v9, v14, s5, -v9
	v_mul_f16_e32 v14, 0x3a79, v12
	s_movk_i32 s7, 0x3a79
	v_mul_f16_e32 v13, 0x3a79, v25
	v_mul_f16_e32 v25, 0xb8b4, v25
	v_fma_f16 v14, v26, s1, -v14
	v_mul_f16_e32 v26, 0x3a79, v26
	v_fma_f16 v13, v30, s1, v13
	v_fma_f16 v25, v30, s7, v25
	v_fma_f16 v12, v12, s6, -v26
	v_add_f16_e32 v26, v24, v13
	v_sub_f16_e32 v13, v24, v13
	v_add_f16_e32 v24, v23, v29
	v_sub_f16_e32 v23, v23, v29
	;; [unrolled: 2-line block ×8, first 2 shown]
	v_mad_u32_u24 v15, v5, 36, v0
	v_pack_b32_f16 v6, v6, v12
	v_pack_b32_f16 v8, v19, v8
	s_movk_i32 s7, 0xcd
	s_barrier
	ds_write2_b32 v15, v8, v6 offset0:8 offset1:9
	v_mul_lo_u16_sdwa v8, v7, s7 dst_sel:DWORD dst_unused:UNUSED_PAD src0_sel:BYTE_0 src1_sel:DWORD
	v_pk_add_f16 v21, v16, v17
	v_pack_b32_f16 v14, v26, v14
	v_lshrrev_b16_e32 v19, 11, v8
	ds_write2_b32 v15, v21, v14 offset1:1
	v_pack_b32_f16 v11, v29, v11
	v_pack_b32_f16 v14, v24, v27
	v_mul_lo_u16_e32 v8, 10, v19
	ds_write2_b32 v15, v14, v11 offset0:2 offset1:3
	v_pk_add_f16 v11, v16, v17 neg_lo:[0,1] neg_hi:[0,1]
	v_pack_b32_f16 v9, v28, v9
	v_mov_b32_e32 v6, 4
	v_sub_u16_e32 v21, v7, v8
	ds_write2_b32 v15, v9, v11 offset0:4 offset1:5
	v_pack_b32_f16 v9, v13, v25
	v_pack_b32_f16 v10, v23, v10
	v_lshlrev_b32_sdwa v8, v6, v21 dst_sel:DWORD dst_unused:UNUSED_PAD src0_sel:DWORD src1_sel:BYTE_0
	ds_write2_b32 v15, v9, v10 offset0:6 offset1:7
	s_waitcnt lgkmcnt(0)
	s_barrier
	global_load_dwordx4 v[8:11], v8, s[12:13]
	v_mul_lo_u16_sdwa v12, v5, s7 dst_sel:DWORD dst_unused:UNUSED_PAD src0_sel:BYTE_0 src1_sel:DWORD
	v_lshrrev_b16_e32 v23, 11, v12
	v_mul_lo_u16_e32 v12, 10, v23
	v_sub_u16_e32 v29, v5, v12
	v_lshlrev_b32_sdwa v6, v6, v29 dst_sel:DWORD dst_unused:UNUSED_PAD src0_sel:DWORD src1_sel:BYTE_0
	global_load_dwordx4 v[12:15], v6, s[12:13]
	v_add_u32_e32 v6, 0x200, v0
	ds_read2_b32 v[16:17], v20 offset0:169 offset1:254
	ds_read2_b32 v[25:26], v22 offset0:83 offset1:168
	;; [unrolled: 1-line block ×3, first 2 shown]
	ds_read_b32 v6, v0 offset:3060
	v_lshl_add_u32 v24, v7, 2, 0
	ds_read_b32 v33, v24
	s_waitcnt lgkmcnt(4)
	v_lshrrev_b32_e32 v30, 16, v16
	s_waitcnt lgkmcnt(2)
	v_lshrrev_b32_e32 v34, 16, v27
	;; [unrolled: 2-line block ×3, first 2 shown]
	v_lshrrev_b32_e32 v31, 16, v25
	v_mov_b32_e32 v47, 2
	v_mul_u32_u24_e32 v23, 0xc8, v23
	v_lshlrev_b32_sdwa v21, v47, v21 dst_sel:DWORD dst_unused:UNUSED_PAD src0_sel:DWORD src1_sel:BYTE_0
	v_mul_u32_u24_e32 v19, 0xc8, v19
	v_add3_u32 v19, 0, v19, v21
	s_waitcnt lgkmcnt(0)
	v_lshrrev_b32_e32 v21, 16, v33
	s_waitcnt vmcnt(1)
	v_mul_f16_sdwa v35, v8, v34 dst_sel:DWORD dst_unused:UNUSED_PAD src0_sel:WORD_1 src1_sel:DWORD
	v_fma_f16 v35, v8, v27, -v35
	v_mul_f16_sdwa v27, v8, v27 dst_sel:DWORD dst_unused:UNUSED_PAD src0_sel:WORD_1 src1_sel:DWORD
	v_fma_f16 v27, v8, v34, v27
	v_mul_f16_sdwa v8, v32, v11 dst_sel:DWORD dst_unused:UNUSED_PAD src0_sel:DWORD src1_sel:WORD_1
	v_fma_f16 v34, v6, v11, -v8
	v_mul_f16_sdwa v6, v6, v11 dst_sel:DWORD dst_unused:UNUSED_PAD src0_sel:DWORD src1_sel:WORD_1
	v_fma_f16 v36, v32, v11, v6
	v_mul_f16_sdwa v6, v16, v9 dst_sel:DWORD dst_unused:UNUSED_PAD src0_sel:DWORD src1_sel:WORD_1
	v_fma_f16 v37, v30, v9, v6
	v_mul_f16_sdwa v6, v30, v9 dst_sel:DWORD dst_unused:UNUSED_PAD src0_sel:DWORD src1_sel:WORD_1
	v_fma_f16 v38, v16, v9, -v6
	v_mul_f16_sdwa v6, v25, v10 dst_sel:DWORD dst_unused:UNUSED_PAD src0_sel:DWORD src1_sel:WORD_1
	v_fma_f16 v39, v31, v10, v6
	v_mul_f16_sdwa v6, v31, v10 dst_sel:DWORD dst_unused:UNUSED_PAD src0_sel:DWORD src1_sel:WORD_1
	v_fma_f16 v25, v25, v10, -v6
	v_lshrrev_b32_e32 v6, 16, v28
	s_waitcnt vmcnt(0)
	v_mul_f16_sdwa v8, v13, v6 dst_sel:DWORD dst_unused:UNUSED_PAD src0_sel:WORD_1 src1_sel:DWORD
	v_fma_f16 v16, v13, v28, -v8
	v_mul_f16_sdwa v8, v13, v28 dst_sel:DWORD dst_unused:UNUSED_PAD src0_sel:WORD_1 src1_sel:DWORD
	v_fma_f16 v28, v13, v6, v8
	v_lshrrev_b32_e32 v6, 16, v17
	v_mul_f16_sdwa v8, v14, v6 dst_sel:DWORD dst_unused:UNUSED_PAD src0_sel:WORD_1 src1_sel:DWORD
	v_fma_f16 v30, v14, v17, -v8
	v_mul_f16_sdwa v8, v14, v17 dst_sel:DWORD dst_unused:UNUSED_PAD src0_sel:WORD_1 src1_sel:DWORD
	v_fma_f16 v17, v14, v6, v8
	ds_read2_b32 v[8:9], v0 offset1:170
	v_lshrrev_b32_e32 v6, 16, v26
	v_mul_f16_sdwa v10, v15, v6 dst_sel:DWORD dst_unused:UNUSED_PAD src0_sel:WORD_1 src1_sel:DWORD
	v_fma_f16 v31, v15, v26, -v10
	v_mul_f16_sdwa v10, v15, v26 dst_sel:DWORD dst_unused:UNUSED_PAD src0_sel:WORD_1 src1_sel:DWORD
	v_fma_f16 v32, v15, v6, v10
	s_waitcnt lgkmcnt(0)
	v_lshrrev_b32_e32 v6, 16, v9
	v_mul_f16_sdwa v10, v12, v9 dst_sel:DWORD dst_unused:UNUSED_PAD src0_sel:WORD_1 src1_sel:DWORD
	v_fma_f16 v40, v12, v6, v10
	v_mul_f16_sdwa v6, v12, v6 dst_sel:DWORD dst_unused:UNUSED_PAD src0_sel:WORD_1 src1_sel:DWORD
	v_fma_f16 v6, v12, v9, -v6
	v_sub_f16_e32 v9, v16, v6
	v_sub_f16_e32 v10, v30, v31
	v_add_f16_e32 v9, v9, v10
	v_add_f16_e32 v10, v6, v31
	v_fma_f16 v10, v10, -0.5, v8
	v_sub_f16_e32 v42, v28, v17
	v_sub_f16_e32 v41, v40, v32
	v_fma_f16 v11, v42, s5, v10
	v_fma_f16 v10, v42, s0, v10
	;; [unrolled: 1-line block ×6, first 2 shown]
	v_sub_f16_e32 v9, v35, v38
	v_sub_f16_e32 v10, v34, v25
	v_add_f16_e32 v9, v9, v10
	v_sub_f16_e32 v10, v38, v35
	v_sub_f16_e32 v11, v25, v34
	v_add_f16_e32 v10, v10, v11
	v_add_f16_e32 v11, v38, v25
	v_fma_f16 v11, v11, -0.5, v33
	v_sub_f16_e32 v26, v27, v36
	v_fma_f16 v12, v26, s0, v11
	v_sub_f16_e32 v43, v37, v39
	v_add_f16_e32 v13, v35, v34
	v_fma_f16 v11, v26, s5, v11
	v_fma_f16 v12, v43, s1, v12
	v_fma_f16 v44, v13, -0.5, v33
	v_fma_f16 v11, v43, s6, v11
	v_fma_f16 v13, v43, s5, v44
	;; [unrolled: 1-line block ×5, first 2 shown]
	v_add_f16_e32 v9, v16, v30
	v_fma_f16 v13, v26, s1, v13
	v_fma_f16 v26, v26, s6, v43
	v_fma_f16 v43, v9, -0.5, v8
	v_lshrrev_b32_e32 v44, 16, v8
	v_add_f16_e32 v8, v8, v6
	v_add_f16_e32 v8, v8, v16
	v_fma_f16 v13, v10, s4, v13
	v_fma_f16 v10, v10, s4, v26
	v_sub_f16_e32 v9, v6, v16
	v_sub_f16_e32 v26, v31, v30
	v_add_f16_e32 v8, v8, v30
	v_add_f16_e32 v45, v9, v26
	;; [unrolled: 1-line block ×3, first 2 shown]
	v_sub_f16_e32 v31, v6, v31
	v_sub_f16_e32 v6, v40, v28
	;; [unrolled: 1-line block ×3, first 2 shown]
	v_add_f16_e32 v46, v6, v26
	v_lshlrev_b32_sdwa v6, v47, v29 dst_sel:DWORD dst_unused:UNUSED_PAD src0_sel:DWORD src1_sel:BYTE_0
	v_add_f16_e32 v26, v28, v17
	v_add3_u32 v23, 0, v23, v6
	v_add_f16_e32 v6, v44, v40
	v_fma_f16 v48, v26, -0.5, v44
	v_fma_f16 v9, v41, s0, v43
	v_sub_f16_e32 v16, v16, v30
	v_add_f16_e32 v6, v6, v28
	v_fma_f16 v26, v31, s5, v48
	v_fma_f16 v9, v42, s1, v9
	v_add_f16_e32 v6, v6, v17
	v_fma_f16 v26, v16, s6, v26
	v_fma_f16 v9, v45, s4, v9
	v_add_f16_e32 v6, v6, v32
	v_fma_f16 v26, v46, s4, v26
	v_pack_b32_f16 v29, v8, v6
	v_pack_b32_f16 v30, v9, v26
	s_barrier
	ds_write2_b32 v23, v29, v30 offset1:10
	v_add_f16_e32 v29, v40, v32
	v_fma_f16 v30, v29, -0.5, v44
	v_sub_f16_e32 v28, v28, v40
	v_sub_f16_e32 v17, v17, v32
	v_add_f16_e32 v17, v28, v17
	v_fma_f16 v28, v16, s0, v30
	v_fma_f16 v28, v31, s6, v28
	;; [unrolled: 1-line block ×6, first 2 shown]
	v_pack_b32_f16 v17, v14, v29
	v_pack_b32_f16 v28, v15, v30
	ds_write2_b32 v23, v17, v28 offset0:20 offset1:30
	v_fma_f16 v17, v41, s5, v43
	v_fma_f16 v28, v31, s0, v48
	;; [unrolled: 1-line block ×6, first 2 shown]
	v_pack_b32_f16 v17, v16, v32
	ds_write_b32 v23, v17 offset:160
	v_add_f16_e32 v17, v33, v35
	v_add_f16_e32 v17, v17, v38
	;; [unrolled: 1-line block ×4, first 2 shown]
	v_sub_f16_e32 v23, v35, v34
	v_sub_f16_e32 v34, v38, v25
	;; [unrolled: 1-line block ×4, first 2 shown]
	v_add_f16_e32 v35, v25, v28
	v_add_f16_e32 v25, v21, v27
	v_add_f16_e32 v25, v25, v37
	v_add_f16_e32 v25, v25, v39
	v_add_f16_e32 v33, v25, v36
	v_add_f16_e32 v25, v37, v39
	v_fma_f16 v38, v25, -0.5, v21
	v_fma_f16 v25, v23, s5, v38
	v_fma_f16 v25, v34, s6, v25
	;; [unrolled: 1-line block ×3, first 2 shown]
	v_pack_b32_f16 v25, v17, v33
	v_pack_b32_f16 v31, v12, v28
	ds_write2_b32 v19, v25, v31 offset1:10
	v_add_f16_e32 v25, v27, v36
	v_fma_f16 v21, v25, -0.5, v21
	v_sub_f16_e32 v25, v37, v27
	v_sub_f16_e32 v27, v39, v36
	v_add_f16_e32 v25, v25, v27
	v_fma_f16 v27, v34, s0, v21
	v_fma_f16 v21, v34, s5, v21
	;; [unrolled: 1-line block ×6, first 2 shown]
	v_pack_b32_f16 v21, v13, v31
	v_pack_b32_f16 v27, v10, v25
	ds_write2_b32 v19, v21, v27 offset0:20 offset1:30
	v_fma_f16 v21, v23, s0, v38
	v_fma_f16 v21, v34, s1, v21
	;; [unrolled: 1-line block ×3, first 2 shown]
	v_pack_b32_f16 v21, v11, v27
	v_cmp_gt_u32_e64 s[0:1], 50, v5
	ds_write_b32 v19, v21 offset:160
	s_waitcnt lgkmcnt(0)
	s_barrier
	s_waitcnt lgkmcnt(0)
                                        ; implicit-def: $vgpr41
                                        ; implicit-def: $vgpr36
                                        ; implicit-def: $vgpr38
                                        ; implicit-def: $vgpr39
                                        ; implicit-def: $vgpr40
                                        ; implicit-def: $vgpr37
                                        ; implicit-def: $vgpr35
                                        ; implicit-def: $vgpr34
                                        ; implicit-def: $vgpr23
                                        ; implicit-def: $vgpr21
                                        ; implicit-def: $vgpr19
	s_and_saveexec_b64 s[4:5], s[0:1]
	s_cbranch_execz .LBB0_15
; %bb.14:
	ds_read2_b32 v[8:9], v0 offset1:50
	ds_read2_b32 v[14:15], v0 offset0:100 offset1:150
	ds_read2_b32 v[10:11], v20 offset0:144 offset1:194
	;; [unrolled: 1-line block ×7, first 2 shown]
	ds_read_b32 v36, v0 offset:3200
	s_waitcnt lgkmcnt(8)
	v_lshrrev_b32_e32 v6, 16, v8
	s_waitcnt lgkmcnt(6)
	v_lshrrev_b32_e32 v25, 16, v10
	v_lshrrev_b32_e32 v27, 16, v11
	s_waitcnt lgkmcnt(4)
	v_lshrrev_b32_e32 v34, 16, v18
	;; [unrolled: 3-line block ×5, first 2 shown]
	v_lshrrev_b32_e32 v26, 16, v9
	v_lshrrev_b32_e32 v29, 16, v14
	;; [unrolled: 1-line block ×7, first 2 shown]
.LBB0_15:
	s_or_b64 exec, exec, s[4:5]
	s_barrier
	s_and_saveexec_b64 s[4:5], s[0:1]
	s_cbranch_execz .LBB0_17
; %bb.16:
	v_lshlrev_b32_e32 v42, 4, v5
	v_add_u32_e32 v43, 0xfffffce0, v42
	v_cndmask_b32_e64 v42, v43, v42, s[0:1]
	v_mov_b32_e32 v43, 0
	v_lshlrev_b64 v[42:43], 2, v[42:43]
	v_mov_b32_e32 v44, s13
	v_add_co_u32_e64 v58, s[0:1], s12, v42
	v_addc_co_u32_e64 v59, s[0:1], v44, v43, s[0:1]
	global_load_dwordx4 v[42:45], v[58:59], off offset:160
	global_load_dwordx4 v[46:49], v[58:59], off offset:208
	;; [unrolled: 1-line block ×4, first 2 shown]
	s_mov_b32 s0, 0xbbdd
	s_movk_i32 s1, 0x3b76
	s_mov_b32 s6, 0xbacd
	s_movk_i32 s7, 0x39e9
	s_mov_b32 s8, 0xb8d2
	s_movk_i32 s9, 0x3722
	s_mov_b32 s14, 0xb461
	s_movk_i32 s15, 0x2de8
	s_waitcnt vmcnt(3)
	v_mul_f16_sdwa v58, v26, v42 dst_sel:DWORD dst_unused:UNUSED_PAD src0_sel:DWORD src1_sel:WORD_1
	s_waitcnt vmcnt(2)
	v_mul_f16_sdwa v59, v41, v49 dst_sel:DWORD dst_unused:UNUSED_PAD src0_sel:DWORD src1_sel:WORD_1
	v_mul_f16_sdwa v61, v9, v42 dst_sel:DWORD dst_unused:UNUSED_PAD src0_sel:DWORD src1_sel:WORD_1
	;; [unrolled: 1-line block ×5, first 2 shown]
	s_waitcnt vmcnt(0)
	v_mul_f16_sdwa v78, v35, v56 dst_sel:DWORD dst_unused:UNUSED_PAD src0_sel:DWORD src1_sel:WORD_1
	v_mul_f16_sdwa v79, v19, v56 dst_sel:DWORD dst_unused:UNUSED_PAD src0_sel:DWORD src1_sel:WORD_1
	v_fma_f16 v61, v26, v42, v61
	v_fma_f16 v42, v9, v42, -v58
	v_fma_f16 v36, v36, v49, -v59
	v_mul_f16_sdwa v63, v14, v43 dst_sel:DWORD dst_unused:UNUSED_PAD src0_sel:DWORD src1_sel:WORD_1
	v_mul_f16_sdwa v67, v23, v48 dst_sel:DWORD dst_unused:UNUSED_PAD src0_sel:DWORD src1_sel:WORD_1
	;; [unrolled: 1-line block ×4, first 2 shown]
	v_fma_f16 v62, v14, v43, -v62
	v_fma_f16 v58, v23, v48, -v66
	v_fma_f16 v41, v41, v49, v60
	v_fma_f16 v49, v19, v56, -v78
	v_fma_f16 v35, v35, v56, v79
	v_sub_f16_e32 v56, v42, v36
	v_mul_f16_sdwa v68, v39, v47 dst_sel:DWORD dst_unused:UNUSED_PAD src0_sel:DWORD src1_sel:WORD_1
	v_mul_f16_sdwa v71, v22, v47 dst_sel:DWORD dst_unused:UNUSED_PAD src0_sel:DWORD src1_sel:WORD_1
	;; [unrolled: 1-line block ×7, first 2 shown]
	v_fma_f16 v43, v29, v43, v63
	v_fma_f16 v38, v38, v48, v67
	v_fma_f16 v48, v20, v57, -v75
	v_fma_f16 v37, v37, v57, v76
	v_add_f16_e32 v9, v61, v41
	v_sub_f16_e32 v57, v62, v58
	v_mul_f16_e32 v66, 0xb1e1, v56
	v_mul_f16_sdwa v64, v30, v44 dst_sel:DWORD dst_unused:UNUSED_PAD src0_sel:DWORD src1_sel:WORD_1
	v_mul_f16_sdwa v83, v11, v54 dst_sel:DWORD dst_unused:UNUSED_PAD src0_sel:DWORD src1_sel:WORD_1
	v_fma_f16 v63, v22, v47, -v68
	v_fma_f16 v39, v39, v47, v71
	v_fma_f16 v47, v17, v50, -v74
	v_fma_f16 v33, v33, v50, v77
	;; [unrolled: 2-line block ×3, first 2 shown]
	v_fma_f16 v55, v11, v54, -v82
	v_add_f16_e32 v11, v43, v38
	v_mul_f16_e32 v67, 0x35c8, v57
	v_fma_f16 v17, v9, s0, v66
	v_mul_f16_sdwa v65, v15, v44 dst_sel:DWORD dst_unused:UNUSED_PAD src0_sel:DWORD src1_sel:WORD_1
	v_mul_f16_sdwa v69, v16, v45 dst_sel:DWORD dst_unused:UNUSED_PAD src0_sel:DWORD src1_sel:WORD_1
	;; [unrolled: 1-line block ×5, first 2 shown]
	v_fma_f16 v64, v15, v44, -v64
	v_fma_f16 v18, v11, s1, v67
	v_add_f16_e32 v17, v6, v17
	v_mul_f16_sdwa v84, v12, v51 dst_sel:DWORD dst_unused:UNUSED_PAD src0_sel:DWORD src1_sel:WORD_1
	v_fma_f16 v44, v30, v44, v65
	v_fma_f16 v32, v32, v45, v69
	v_fma_f16 v45, v16, v45, -v70
	v_fma_f16 v40, v40, v46, v73
	v_fma_f16 v46, v21, v46, -v72
	v_sub_f16_e32 v59, v64, v63
	v_add_f16_e32 v17, v18, v17
	v_mul_f16_sdwa v18, v28, v51 dst_sel:DWORD dst_unused:UNUSED_PAD src0_sel:DWORD src1_sel:WORD_1
	v_add_f16_e32 v14, v44, v39
	v_sub_f16_e32 v60, v45, v46
	v_mul_f16_e32 v68, 0xb836, v59
	v_fma_f16 v71, v28, v51, v84
	v_fma_f16 v51, v12, v51, -v18
	v_mul_f16_sdwa v12, v31, v52 dst_sel:DWORD dst_unused:UNUSED_PAD src0_sel:DWORD src1_sel:WORD_1
	v_add_f16_e32 v15, v32, v40
	v_sub_f16_e32 v65, v47, v48
	v_mul_f16_e32 v69, 0x3964, v60
	v_fma_f16 v19, v14, s6, v68
	v_fma_f16 v72, v13, v52, -v12
	v_mul_f16_sdwa v12, v13, v52 dst_sel:DWORD dst_unused:UNUSED_PAD src0_sel:DWORD src1_sel:WORD_1
	v_add_f16_e32 v16, v33, v37
	v_mul_f16_e32 v70, 0xba62, v65
	v_fma_f16 v20, v15, s7, v69
	v_add_f16_e32 v17, v19, v17
	v_fma_f16 v52, v31, v52, v12
	v_mul_f16_sdwa v12, v25, v53 dst_sel:DWORD dst_unused:UNUSED_PAD src0_sel:DWORD src1_sel:WORD_1
	v_sub_f16_e32 v74, v51, v49
	v_fma_f16 v21, v16, s8, v70
	v_add_f16_e32 v17, v20, v17
	v_fma_f16 v73, v10, v53, -v12
	v_mul_f16_sdwa v10, v10, v53 dst_sel:DWORD dst_unused:UNUSED_PAD src0_sel:DWORD src1_sel:WORD_1
	v_mul_f16_e32 v75, 0x3b29, v74
	v_add_f16_e32 v12, v71, v35
	v_sub_f16_e32 v76, v72, v50
	v_add_f16_e32 v17, v21, v17
	v_fma_f16 v53, v25, v53, v10
	v_fma_f16 v10, v12, s9, v75
	v_mul_f16_e32 v77, 0xbbb2, v76
	v_add_f16_e32 v13, v52, v34
	v_fma_f16 v54, v27, v54, v83
	v_add_f16_e32 v10, v10, v17
	v_fma_f16 v17, v13, s14, v77
	v_sub_f16_e32 v78, v73, v55
	v_add_f16_e32 v10, v17, v10
	v_mul_f16_e32 v79, 0x3bf7, v78
	v_add_f16_e32 v17, v53, v54
	v_fma_f16 v18, v17, s15, v79
	v_sub_f16_e32 v80, v61, v41
	v_add_f16_e32 v10, v18, v10
	v_add_f16_e32 v18, v42, v36
	v_mul_f16_e32 v81, 0xb1e1, v80
	v_fma_f16 v19, v18, s0, -v81
	v_sub_f16_e32 v82, v43, v38
	v_add_f16_e32 v20, v8, v19
	v_add_f16_e32 v19, v62, v58
	v_mul_f16_e32 v83, 0x35c8, v82
	v_fma_f16 v21, v19, s1, -v83
	;; [unrolled: 5-line block ×8, first 2 shown]
	v_mul_f16_e32 v96, 0xb836, v56
	v_add_f16_e32 v22, v28, v22
	v_fma_f16 v28, v9, s6, v96
	v_mul_f16_e32 v97, 0x3b29, v57
	v_add_f16_e32 v28, v6, v28
	v_fma_f16 v29, v11, s9, v97
	;; [unrolled: 3-line block ×8, first 2 shown]
	v_mul_f16_e32 v104, 0xb836, v80
	v_add_f16_e32 v28, v29, v28
	v_fma_f16 v29, v18, s6, -v104
	v_mul_f16_e32 v105, 0x3b29, v82
	v_add_f16_e32 v29, v8, v29
	v_fma_f16 v30, v19, s9, -v105
	;; [unrolled: 3-line block ×8, first 2 shown]
	v_mul_f16_e32 v112, 0xba62, v56
	v_add_f16_e32 v29, v30, v29
	v_fma_f16 v30, v9, s8, v112
	v_mul_f16_e32 v113, 0x3bb2, v57
	v_add_f16_e32 v30, v6, v30
	v_fma_f16 v31, v11, s14, v113
	;; [unrolled: 3-line block ×8, first 2 shown]
	v_mul_f16_e32 v120, 0xba62, v80
	v_add_f16_e32 v30, v31, v30
	v_fma_f16 v31, v18, s8, -v120
	v_mul_f16_e32 v121, 0x3bb2, v82
	v_add_f16_e32 v31, v8, v31
	v_fma_f16 v122, v19, s14, -v121
	v_add_f16_e32 v31, v122, v31
	v_mul_f16_e32 v122, 0xb5c8, v84
	v_fma_f16 v123, v20, s1, -v122
	v_add_f16_e32 v31, v123, v31
	v_mul_f16_e32 v123, 0xb836, v86
	;; [unrolled: 3-line block ×7, first 2 shown]
	v_fma_f16 v129, v9, s14, v128
	v_mul_f16_e32 v130, 0x3836, v57
	v_add_f16_e32 v129, v6, v129
	v_fma_f16 v131, v11, s6, v130
	v_add_f16_e32 v42, v8, v42
	v_add_f16_e32 v129, v131, v129
	v_mul_f16_e32 v131, 0x3964, v59
	v_add_f16_e32 v42, v42, v62
	v_fma_f16 v132, v14, s7, v131
	v_add_f16_e32 v42, v42, v64
	v_add_f16_e32 v129, v132, v129
	;; [unrolled: 5-line block ×7, first 2 shown]
	v_mul_f16_e32 v137, 0xbbb2, v80
	v_add_f16_e32 v42, v42, v63
	v_fma_f16 v138, v18, s14, -v137
	v_mul_f16_e32 v139, 0x3836, v82
	v_add_f16_e32 v42, v42, v58
	v_add_f16_e32 v138, v8, v138
	v_fma_f16 v140, v19, s6, -v139
	v_add_f16_e32 v36, v42, v36
	v_add_f16_e32 v42, v6, v61
	v_add_f16_e32 v138, v140, v138
	v_mul_f16_e32 v140, 0x3964, v84
	v_add_f16_e32 v42, v42, v43
	v_fma_f16 v141, v20, s7, -v140
	v_add_f16_e32 v42, v42, v44
	v_add_f16_e32 v138, v141, v138
	v_mul_f16_e32 v141, 0xbb29, v86
	v_add_f16_e32 v32, v42, v32
	v_fma_f16 v142, v21, s9, -v141
	v_add_f16_e32 v32, v32, v33
	v_add_f16_e32 v138, v142, v138
	v_mul_f16_e32 v142, 0xb1e1, v88
	v_add_f16_e32 v32, v32, v71
	v_fma_f16 v143, v23, s0, -v142
	v_add_f16_e32 v32, v32, v52
	v_add_f16_e32 v138, v143, v138
	v_mul_f16_e32 v143, 0x3bf7, v90
	v_add_f16_e32 v32, v32, v53
	v_fma_f16 v144, v25, s15, -v143
	v_add_f16_e32 v32, v32, v54
	v_fma_f16 v33, v9, s0, -v66
	v_add_f16_e32 v138, v144, v138
	v_mul_f16_e32 v144, 0xb5c8, v92
	v_add_f16_e32 v32, v32, v34
	v_add_f16_e32 v33, v6, v33
	v_fma_f16 v34, v11, s1, -v67
	v_fma_f16 v145, v26, s1, -v144
	v_add_f16_e32 v33, v34, v33
	v_fma_f16 v34, v14, s6, -v68
	v_add_f16_e32 v138, v145, v138
	v_mul_f16_e32 v145, 0xba62, v94
	v_add_f16_e32 v33, v34, v33
	v_fma_f16 v34, v15, s7, -v69
	v_fma_f16 v146, v27, s8, -v145
	v_add_f16_e32 v33, v34, v33
	v_fma_f16 v34, v16, s8, -v70
	v_add_f16_e32 v138, v146, v138
	v_mul_f16_e32 v146, 0xbbf7, v56
	v_add_f16_e32 v33, v34, v33
	v_fma_f16 v34, v12, s9, -v75
	v_fma_f16 v147, v9, s15, v146
	v_mul_f16_e32 v148, 0xb1e1, v57
	v_add_f16_e32 v33, v34, v33
	v_fma_f16 v34, v13, s14, -v77
	v_add_f16_e32 v147, v6, v147
	v_fma_f16 v149, v11, s0, v148
	v_add_f16_e32 v33, v34, v33
	v_fma_f16 v34, v17, s15, -v79
	v_add_f16_e32 v147, v149, v147
	v_mul_f16_e32 v149, 0x3bb2, v59
	v_add_f16_e32 v33, v34, v33
	v_fma_f16 v34, v18, s0, v81
	v_fma_f16 v150, v14, s14, v149
	v_add_f16_e32 v32, v32, v35
	v_add_f16_e32 v34, v8, v34
	v_fma_f16 v35, v19, s1, v83
	v_add_f16_e32 v147, v150, v147
	v_mul_f16_e32 v150, 0x35c8, v60
	v_add_f16_e32 v34, v35, v34
	v_fma_f16 v35, v20, s6, v85
	v_fma_f16 v151, v15, s1, v150
	v_add_f16_e32 v34, v35, v34
	v_fma_f16 v35, v21, s7, v87
	v_add_f16_e32 v147, v151, v147
	v_mul_f16_e32 v151, 0xbb29, v65
	v_add_f16_e32 v34, v35, v34
	v_fma_f16 v35, v23, s8, v89
	v_fma_f16 v152, v16, s9, v151
	;; [unrolled: 7-line block ×3, first 2 shown]
	v_add_f16_e32 v34, v35, v34
	v_fma_f16 v35, v27, s15, v95
	v_add_f16_e32 v147, v153, v147
	v_mul_f16_e32 v153, 0x3a62, v76
	v_add_f16_e32 v34, v35, v34
	v_fma_f16 v35, v9, s6, -v96
	v_fma_f16 v154, v13, s8, v153
	v_add_f16_e32 v32, v32, v37
	v_add_f16_e32 v35, v6, v35
	v_fma_f16 v37, v11, s9, -v97
	v_add_f16_e32 v147, v154, v147
	v_mul_f16_e32 v154, 0x3964, v78
	v_add_f16_e32 v35, v37, v35
	v_fma_f16 v37, v14, s15, -v98
	v_fma_f16 v155, v17, s7, v154
	v_add_f16_e32 v35, v37, v35
	v_fma_f16 v37, v15, s8, -v99
	v_add_f16_e32 v147, v155, v147
	v_mul_f16_e32 v155, 0xbbf7, v80
	v_add_f16_e32 v35, v37, v35
	v_fma_f16 v37, v16, s1, -v100
	v_fma_f16 v156, v18, s15, -v155
	v_mul_f16_e32 v157, 0xb1e1, v82
	v_add_f16_e32 v35, v37, v35
	v_fma_f16 v37, v12, s0, -v101
	v_add_f16_e32 v156, v8, v156
	v_fma_f16 v158, v19, s0, -v157
	;; [unrolled: 2-line block ×3, first 2 shown]
	v_add_f16_e32 v156, v158, v156
	v_mul_f16_e32 v158, 0x3bb2, v84
	v_add_f16_e32 v32, v32, v40
	v_add_f16_e32 v35, v37, v35
	v_fma_f16 v37, v17, s14, -v103
	v_fma_f16 v159, v20, s14, -v158
	v_add_f16_e32 v32, v32, v39
	v_add_f16_e32 v35, v37, v35
	v_fma_f16 v37, v18, s6, v104
	v_add_f16_e32 v156, v159, v156
	v_mul_f16_e32 v159, 0x35c8, v86
	v_add_f16_e32 v32, v32, v38
	v_add_f16_e32 v37, v8, v37
	v_fma_f16 v38, v19, s9, v105
	v_fma_f16 v160, v21, s1, -v159
	v_add_f16_e32 v37, v38, v37
	v_fma_f16 v38, v20, s15, v106
	v_add_f16_e32 v156, v160, v156
	v_mul_f16_e32 v160, 0xbb29, v88
	v_add_f16_e32 v37, v38, v37
	v_fma_f16 v38, v21, s8, v107
	v_fma_f16 v161, v23, s9, -v160
	v_add_f16_e32 v37, v38, v37
	v_fma_f16 v38, v23, s1, v108
	v_add_f16_e32 v156, v161, v156
	v_mul_f16_e32 v161, 0xb836, v90
	;; [unrolled: 7-line block ×3, first 2 shown]
	v_add_f16_e32 v37, v38, v37
	v_fma_f16 v38, v27, s14, v111
	v_fma_f16 v163, v26, s8, -v162
	v_add_f16_e32 v37, v38, v37
	v_fma_f16 v38, v9, s8, -v112
	v_add_f16_e32 v156, v163, v156
	v_mul_f16_e32 v163, 0x3964, v94
	v_add_f16_e32 v38, v6, v38
	v_fma_f16 v39, v11, s14, -v113
	v_fma_f16 v164, v27, s7, -v163
	v_add_f16_e32 v38, v39, v38
	v_fma_f16 v39, v14, s1, -v114
	v_add_f16_e32 v156, v164, v156
	v_mul_f16_e32 v164, 0xbb29, v56
	v_add_f16_e32 v38, v39, v38
	v_fma_f16 v39, v15, s6, -v115
	v_fma_f16 v165, v9, s9, v164
	v_mul_f16_e32 v166, 0xba62, v57
	v_add_f16_e32 v38, v39, v38
	v_fma_f16 v39, v16, s15, -v116
	v_add_f16_e32 v165, v6, v165
	v_fma_f16 v167, v11, s8, v166
	v_add_f16_e32 v38, v39, v38
	v_fma_f16 v39, v12, s7, -v117
	v_add_f16_e32 v165, v167, v165
	v_mul_f16_e32 v167, 0x31e1, v59
	v_add_f16_e32 v38, v39, v38
	v_fma_f16 v39, v13, s0, -v118
	v_fma_f16 v168, v14, s0, v167
	v_add_f16_e32 v38, v39, v38
	v_fma_f16 v39, v17, s9, -v119
	v_add_f16_e32 v165, v168, v165
	v_mul_f16_e32 v168, 0x3bb2, v60
	v_add_f16_e32 v38, v39, v38
	v_fma_f16 v39, v18, s8, v120
	v_fma_f16 v169, v15, s14, v168
	v_add_f16_e32 v39, v8, v39
	v_fma_f16 v40, v19, s14, v121
	v_add_f16_e32 v165, v169, v165
	v_mul_f16_e32 v169, 0x3964, v65
	v_add_f16_e32 v39, v40, v39
	v_fma_f16 v40, v20, s1, v122
	v_fma_f16 v170, v16, s7, v169
	v_add_f16_e32 v39, v40, v39
	v_fma_f16 v40, v21, s6, v123
	;; [unrolled: 7-line block ×4, first 2 shown]
	v_add_f16_e32 v165, v172, v165
	v_mul_f16_e32 v172, 0xb836, v78
	v_add_f16_e32 v39, v40, v39
	v_fma_f16 v40, v9, s14, -v128
	v_fma_f16 v173, v17, s6, v172
	v_add_f16_e32 v32, v32, v41
	v_add_f16_e32 v40, v6, v40
	v_fma_f16 v41, v11, s6, -v130
	v_add_f16_e32 v165, v173, v165
	v_mul_f16_e32 v173, 0xbb29, v80
	v_add_f16_e32 v40, v41, v40
	v_fma_f16 v41, v14, s7, -v131
	v_fma_f16 v174, v18, s9, -v173
	v_mul_f16_e32 v175, 0xba62, v82
	v_add_f16_e32 v40, v41, v40
	v_fma_f16 v41, v15, s9, -v132
	v_add_f16_e32 v174, v8, v174
	v_fma_f16 v176, v19, s8, -v175
	;; [unrolled: 2-line block ×3, first 2 shown]
	v_add_f16_e32 v174, v176, v174
	v_mul_f16_e32 v176, 0x31e1, v84
	v_add_f16_e32 v40, v41, v40
	v_fma_f16 v41, v12, s15, -v134
	v_fma_f16 v177, v20, s0, -v176
	v_add_f16_e32 v40, v41, v40
	v_fma_f16 v41, v13, s1, -v135
	v_add_f16_e32 v174, v177, v174
	v_mul_f16_e32 v177, 0x3bb2, v86
	v_add_f16_e32 v40, v41, v40
	v_fma_f16 v41, v17, s8, -v136
	v_fma_f16 v178, v21, s14, -v177
	v_add_f16_e32 v40, v41, v40
	v_fma_f16 v41, v18, s14, v137
	v_add_f16_e32 v174, v178, v174
	v_mul_f16_e32 v178, 0x3964, v88
	v_add_f16_e32 v41, v8, v41
	v_fma_f16 v42, v19, s6, v139
	v_fma_f16 v179, v23, s7, -v178
	v_add_f16_e32 v41, v42, v41
	v_fma_f16 v42, v20, s7, v140
	v_add_f16_e32 v174, v179, v174
	v_mul_f16_e32 v179, 0xb5c8, v90
	v_add_f16_e32 v41, v42, v41
	v_fma_f16 v42, v21, s9, v141
	;; [unrolled: 7-line block ×4, first 2 shown]
	v_fma_f16 v182, v27, s6, -v181
	v_add_f16_e32 v41, v42, v41
	v_fma_f16 v42, v9, s15, -v146
	v_add_f16_e32 v174, v182, v174
	v_mul_f16_e32 v182, 0xb964, v56
	v_add_f16_e32 v42, v6, v42
	v_fma_f16 v43, v11, s0, -v148
	v_fma_f16 v183, v9, s7, v182
	v_mul_f16_e32 v184, 0xbbf7, v57
	v_add_f16_e32 v42, v43, v42
	v_fma_f16 v43, v14, s14, -v149
	v_add_f16_e32 v183, v6, v183
	v_fma_f16 v185, v11, s15, v184
	v_add_f16_e32 v42, v43, v42
	v_fma_f16 v43, v15, s1, -v150
	v_add_f16_e32 v183, v185, v183
	v_mul_f16_e32 v185, 0xba62, v59
	v_add_f16_e32 v42, v43, v42
	v_fma_f16 v43, v16, s9, -v151
	v_fma_f16 v186, v14, s8, v185
	v_add_f16_e32 v42, v43, v42
	v_fma_f16 v43, v12, s6, -v152
	v_add_f16_e32 v183, v186, v183
	v_mul_f16_e32 v186, 0xb1e1, v60
	v_add_f16_e32 v42, v43, v42
	v_fma_f16 v43, v13, s8, -v153
	v_fma_f16 v187, v15, s0, v186
	v_add_f16_e32 v42, v43, v42
	v_fma_f16 v43, v17, s7, -v154
	v_add_f16_e32 v183, v187, v183
	v_mul_f16_e32 v187, 0x3836, v65
	v_add_f16_e32 v42, v43, v42
	v_fma_f16 v43, v18, s15, v155
	v_fma_f16 v188, v16, s6, v187
	v_add_f16_e32 v43, v8, v43
	v_fma_f16 v44, v19, s0, v157
	v_add_f16_e32 v183, v188, v183
	v_mul_f16_e32 v188, 0x3bb2, v74
	v_add_f16_e32 v43, v44, v43
	v_fma_f16 v44, v20, s14, v158
	v_fma_f16 v189, v12, s14, v188
	v_add_f16_e32 v43, v44, v43
	v_fma_f16 v44, v21, s1, v159
	;; [unrolled: 7-line block ×4, first 2 shown]
	v_add_f16_e32 v183, v191, v183
	v_mul_f16_e32 v191, 0xb964, v80
	v_add_f16_e32 v43, v44, v43
	v_fma_f16 v44, v9, s9, -v164
	v_fma_f16 v192, v18, s7, -v191
	v_mul_f16_e32 v193, 0xbbf7, v82
	v_add_f16_e32 v44, v6, v44
	v_fma_f16 v45, v11, s8, -v166
	v_add_f16_e32 v192, v8, v192
	v_fma_f16 v194, v19, s15, -v193
	v_add_f16_e32 v44, v45, v44
	v_fma_f16 v45, v14, s0, -v167
	v_add_f16_e32 v192, v194, v192
	v_mul_f16_e32 v194, 0xba62, v84
	v_add_f16_e32 v44, v45, v44
	v_fma_f16 v45, v15, s14, -v168
	v_fma_f16 v195, v20, s8, -v194
	v_add_f16_e32 v44, v45, v44
	v_fma_f16 v45, v16, s7, -v169
	v_add_f16_e32 v192, v195, v192
	v_mul_f16_e32 v195, 0xb1e1, v86
	v_add_f16_e32 v44, v45, v44
	v_fma_f16 v45, v12, s1, -v170
	v_fma_f16 v196, v21, s0, -v195
	v_add_f16_e32 v44, v45, v44
	v_fma_f16 v45, v13, s15, -v171
	v_add_f16_e32 v192, v196, v192
	v_mul_f16_e32 v196, 0x3836, v88
	v_add_f16_e32 v44, v45, v44
	v_fma_f16 v45, v17, s6, -v172
	v_fma_f16 v197, v23, s6, -v196
	v_add_f16_e32 v44, v45, v44
	v_fma_f16 v45, v18, s9, v173
	v_add_f16_e32 v192, v197, v192
	v_mul_f16_e32 v197, 0x3bb2, v90
	v_add_f16_e32 v45, v8, v45
	v_fma_f16 v46, v19, s8, v175
	v_fma_f16 v198, v25, s14, -v197
	v_add_f16_e32 v45, v46, v45
	v_fma_f16 v46, v20, s0, v176
	v_add_f16_e32 v192, v198, v192
	v_mul_f16_e32 v198, 0x3b29, v92
	v_add_f16_e32 v45, v46, v45
	v_fma_f16 v46, v21, s14, v177
	;; [unrolled: 7-line block ×3, first 2 shown]
	v_fma_f16 v200, v27, s1, -v199
	v_mul_f16_e32 v56, 0xb5c8, v56
	v_add_f16_e32 v45, v46, v45
	v_fma_f16 v46, v26, s15, v180
	v_add_f16_e32 v192, v200, v192
	v_fma_f16 v200, v9, s1, v56
	v_mul_f16_e32 v57, 0xb964, v57
	v_add_f16_e32 v45, v46, v45
	v_fma_f16 v46, v27, s6, v181
	v_add_f16_e32 v200, v6, v200
	v_fma_f16 v201, v11, s7, v57
	v_mul_f16_e32 v59, 0xbb29, v59
	v_add_f16_e32 v45, v46, v45
	v_fma_f16 v46, v9, s7, -v182
	v_fma_f16 v9, v9, s1, -v56
	v_add_f16_e32 v200, v201, v200
	v_fma_f16 v201, v14, s9, v59
	v_mul_f16_e32 v60, 0xbbf7, v60
	v_add_f16_e32 v46, v6, v46
	v_fma_f16 v47, v11, s15, -v184
	v_add_f16_e32 v6, v6, v9
	v_fma_f16 v9, v11, s7, -v57
	v_add_f16_e32 v200, v201, v200
	v_fma_f16 v201, v15, s15, v60
	v_mul_f16_e32 v65, 0xbbb2, v65
	v_add_f16_e32 v46, v47, v46
	v_fma_f16 v47, v14, s8, -v185
	v_add_f16_e32 v6, v9, v6
	;; [unrolled: 7-line block ×6, first 2 shown]
	v_fma_f16 v9, v13, s6, -v76
	v_add_f16_e32 v200, v201, v200
	v_fma_f16 v201, v18, s1, -v80
	v_mul_f16_e32 v82, 0xb964, v82
	v_add_f16_e32 v46, v47, v46
	v_fma_f16 v47, v17, s1, -v190
	v_add_f16_e32 v6, v9, v6
	v_fma_f16 v9, v17, s0, -v78
	v_add_f16_e32 v201, v8, v201
	v_fma_f16 v202, v19, s7, -v82
	v_mul_f16_e32 v84, 0xbb29, v84
	v_add_f16_e32 v46, v47, v46
	v_fma_f16 v47, v18, s7, v191
	v_add_f16_e32 v6, v9, v6
	v_fma_f16 v9, v18, s1, v80
	v_add_f16_e32 v201, v202, v201
	v_fma_f16 v202, v20, s9, -v84
	v_mul_f16_e32 v86, 0xbbf7, v86
	v_add_f16_e32 v47, v8, v47
	v_add_f16_e32 v8, v8, v9
	v_fma_f16 v9, v19, s7, v82
	v_add_f16_e32 v201, v202, v201
	v_fma_f16 v202, v21, s15, -v86
	v_mul_f16_e32 v88, 0xbbb2, v88
	v_add_f16_e32 v8, v9, v8
	v_fma_f16 v9, v20, s9, v84
	v_add_f16_e32 v201, v202, v201
	v_fma_f16 v202, v23, s14, -v88
	v_mul_f16_e32 v90, 0xba62, v90
	;; [unrolled: 5-line block ×4, first 2 shown]
	v_add_f16_e32 v8, v9, v8
	v_fma_f16 v9, v25, s8, v90
	v_add_f16_e32 v201, v202, v201
	v_fma_f16 v202, v27, s0, -v94
	v_add_f16_e32 v8, v9, v8
	v_fma_f16 v9, v26, s6, v92
	v_add_f16_e32 v201, v202, v201
	v_fma_f16 v48, v19, s15, v193
	;; [unrolled: 2-line block ×4, first 2 shown]
	v_add_f16_e32 v8, v9, v8
	v_pack_b32_f16 v9, v36, v32
	v_pack_b32_f16 v11, v201, v200
	v_add_f16_e32 v47, v48, v47
	v_fma_f16 v48, v21, s0, v195
	ds_write2_b32 v0, v9, v11 offset1:50
	v_pack_b32_f16 v9, v192, v183
	v_pack_b32_f16 v11, v174, v165
	v_add_f16_e32 v47, v48, v47
	v_fma_f16 v48, v23, s6, v196
	ds_write2_b32 v0, v9, v11 offset0:100 offset1:150
	v_pack_b32_f16 v9, v156, v147
	v_pack_b32_f16 v11, v138, v129
	v_add_f16_e32 v47, v48, v47
	v_fma_f16 v48, v25, s14, v197
	ds_write2_b32 v0, v9, v11 offset0:200 offset1:250
	v_pack_b32_f16 v9, v31, v30
	v_pack_b32_f16 v11, v29, v28
	v_add_u32_e32 v12, 0x400, v0
	v_add_f16_e32 v47, v48, v47
	v_fma_f16 v48, v26, s9, v198
	ds_write2_b32 v12, v9, v11 offset0:44 offset1:94
	v_pack_b32_f16 v9, v22, v10
	v_pack_b32_f16 v10, v34, v33
	v_add_f16_e32 v47, v48, v47
	v_fma_f16 v48, v27, s1, v199
	ds_write2_b32 v12, v9, v10 offset0:144 offset1:194
	v_pack_b32_f16 v9, v37, v35
	v_pack_b32_f16 v10, v39, v38
	v_add_u32_e32 v11, 0x600, v0
	v_add_f16_e32 v47, v48, v47
	ds_write2_b32 v11, v9, v10 offset0:116 offset1:166
	v_pack_b32_f16 v9, v41, v40
	v_pack_b32_f16 v10, v43, v42
	v_add_u32_e32 v11, 0x800, v0
	ds_write2_b32 v11, v9, v10 offset0:88 offset1:138
	v_pack_b32_f16 v9, v45, v44
	v_pack_b32_f16 v10, v47, v46
	v_pack_b32_f16 v6, v8, v6
	ds_write2_b32 v11, v9, v10 offset0:188 offset1:238
	ds_write_b32 v0, v6 offset:3200
.LBB0_17:
	s_or_b64 exec, exec, s[4:5]
	s_waitcnt lgkmcnt(0)
	s_barrier
	ds_read_b32 v8, v0
	v_lshlrev_b32_e32 v6, 2, v5
	v_sub_u32_e32 v11, 0, v6
	v_cmp_ne_u32_e64 s[0:1], 0, v5
                                        ; implicit-def: $vgpr14
                                        ; implicit-def: $vgpr12
                                        ; implicit-def: $vgpr13
                                        ; implicit-def: $vgpr9_vgpr10
	s_and_saveexec_b64 s[4:5], s[0:1]
	s_xor_b64 s[4:5], exec, s[4:5]
	s_cbranch_execz .LBB0_19
; %bb.18:
	v_mov_b32_e32 v6, 0
	v_lshlrev_b64 v[9:10], 2, v[5:6]
	v_mov_b32_e32 v12, s13
	v_add_co_u32_e64 v9, s[0:1], s12, v9
	v_addc_co_u32_e64 v10, s[0:1], v12, v10, s[0:1]
	global_load_dword v9, v[9:10], off offset:3360
	ds_read_b32 v10, v11 offset:3400
	s_mov_b32 s0, 0xffff
	s_waitcnt lgkmcnt(0)
	v_pk_add_f16 v12, v8, v10 neg_lo:[0,1] neg_hi:[0,1]
	v_pk_add_f16 v8, v10, v8
	v_bfi_b32 v10, s0, v12, v8
	v_bfi_b32 v8, s0, v8, v12
	v_pk_mul_f16 v10, v10, 0.5 op_sel_hi:[1,0]
	v_pk_mul_f16 v12, v8, 0.5 op_sel_hi:[1,0]
	s_waitcnt vmcnt(0)
	v_pk_mul_f16 v13, v9, v10 op_sel:[1,0]
	v_pk_mul_f16 v9, v9, v10 op_sel_hi:[0,1]
	v_pk_fma_f16 v8, v8, 0.5, v13 op_sel_hi:[1,0,1]
	v_sub_f16_e32 v10, v12, v13
	v_sub_f16_sdwa v13, v13, v12 dst_sel:DWORD dst_unused:UNUSED_PAD src0_sel:WORD_1 src1_sel:WORD_1
	v_pk_add_f16 v14, v8, v9 op_sel:[0,1] op_sel_hi:[1,0]
	v_pk_add_f16 v8, v8, v9 op_sel:[0,1] op_sel_hi:[1,0] neg_lo:[0,1] neg_hi:[0,1]
	v_sub_f16_sdwa v12, v10, v9 dst_sel:DWORD dst_unused:UNUSED_PAD src0_sel:DWORD src1_sel:WORD_1
	v_sub_f16_e32 v13, v13, v9
	v_mov_b32_e32 v10, v6
	v_bfi_b32 v14, s0, v14, v8
	v_mov_b32_e32 v9, v5
                                        ; implicit-def: $vgpr8
.LBB0_19:
	s_andn2_saveexec_b64 s[0:1], s[4:5]
	s_cbranch_execz .LBB0_21
; %bb.20:
	v_mov_b32_e32 v13, 0
	ds_read_u16 v6, v13 offset:1702
	s_waitcnt lgkmcnt(1)
	v_alignbit_b32 v14, s0, v8, 16
	v_sub_f16_sdwa v12, v8, v8 dst_sel:DWORD dst_unused:UNUSED_PAD src0_sel:DWORD src1_sel:WORD_1
	v_mov_b32_e32 v9, 0
	v_pk_add_f16 v8, v14, v8
	v_mov_b32_e32 v10, 0
	s_waitcnt lgkmcnt(0)
	v_xor_b32_e32 v6, 0x8000, v6
	v_pack_b32_f16 v14, v8, 0
	ds_write_b16 v13, v6 offset:1702
.LBB0_21:
	s_or_b64 exec, exec, s[0:1]
	s_waitcnt lgkmcnt(0)
	v_mov_b32_e32 v8, 0
	v_lshlrev_b64 v[6:7], 2, v[7:8]
	v_mov_b32_e32 v15, s13
	v_add_co_u32_e64 v6, s[0:1], s12, v6
	v_addc_co_u32_e64 v7, s[0:1], v15, v7, s[0:1]
	global_load_dword v15, v[6:7], off offset:3360
	s_add_u32 s0, s12, 0xd20
	v_lshlrev_b64 v[6:7], 2, v[9:10]
	s_addc_u32 s1, s13, 0
	v_mov_b32_e32 v9, s1
	v_add_co_u32_e64 v6, s[0:1], s0, v6
	v_addc_co_u32_e64 v7, s[0:1], v9, v7, s[0:1]
	global_load_dword v9, v[6:7], off offset:680
	global_load_dword v10, v[6:7], off offset:1020
	ds_write_b16 v11, v13 offset:3402
	ds_write_b32 v0, v14
	ds_write_b16 v11, v12 offset:3400
	ds_read_b32 v12, v24
	ds_read_b32 v13, v11 offset:3060
	global_load_dword v6, v[6:7], off offset:1360
	s_mov_b32 s0, 0xffff
	s_waitcnt lgkmcnt(0)
	v_pk_add_f16 v7, v12, v13 neg_lo:[0,1] neg_hi:[0,1]
	v_pk_add_f16 v12, v12, v13
	v_bfi_b32 v13, s0, v7, v12
	v_bfi_b32 v7, s0, v12, v7
	v_pk_mul_f16 v12, v13, 0.5 op_sel_hi:[1,0]
	v_pk_mul_f16 v7, v7, 0.5 op_sel_hi:[1,0]
	s_waitcnt vmcnt(3)
	v_pk_fma_f16 v13, v15, v12, v7 op_sel:[1,0,0]
	v_pk_mul_f16 v14, v15, v12 op_sel_hi:[0,1]
	v_pk_fma_f16 v16, v15, v12, v7 op_sel:[1,0,0] neg_lo:[1,0,0] neg_hi:[1,0,0]
	v_pk_fma_f16 v7, v15, v12, v7 op_sel:[1,0,0] neg_lo:[0,0,1] neg_hi:[0,0,1]
	v_pk_add_f16 v12, v13, v14 op_sel:[0,1] op_sel_hi:[1,0]
	v_pk_add_f16 v13, v13, v14 op_sel:[0,1] op_sel_hi:[1,0] neg_lo:[0,1] neg_hi:[0,1]
	v_pk_add_f16 v15, v16, v14 op_sel:[0,1] op_sel_hi:[1,0] neg_lo:[0,1] neg_hi:[0,1]
	;; [unrolled: 1-line block ×3, first 2 shown]
	v_bfi_b32 v12, s0, v12, v13
	v_bfi_b32 v7, s0, v15, v7
	ds_write_b32 v24, v12
	ds_write_b32 v11, v7 offset:3060
	ds_read_b32 v7, v0 offset:680
	ds_read_b32 v12, v11 offset:2720
	s_waitcnt lgkmcnt(0)
	v_pk_add_f16 v13, v7, v12 neg_lo:[0,1] neg_hi:[0,1]
	v_pk_add_f16 v7, v7, v12
	v_bfi_b32 v12, s0, v13, v7
	v_bfi_b32 v7, s0, v7, v13
	v_pk_mul_f16 v12, v12, 0.5 op_sel_hi:[1,0]
	v_pk_mul_f16 v13, v7, 0.5 op_sel_hi:[1,0]
	s_waitcnt vmcnt(2)
	v_pk_mul_f16 v14, v9, v12 op_sel:[1,0]
	v_pk_mul_f16 v9, v9, v12 op_sel_hi:[0,1]
	v_pk_fma_f16 v7, v7, 0.5, v14 op_sel_hi:[1,0,1]
	v_sub_f16_e32 v12, v13, v14
	v_sub_f16_sdwa v13, v14, v13 dst_sel:DWORD dst_unused:UNUSED_PAD src0_sel:WORD_1 src1_sel:WORD_1
	v_pk_add_f16 v14, v7, v9 op_sel:[0,1] op_sel_hi:[1,0]
	v_pk_add_f16 v7, v7, v9 op_sel:[0,1] op_sel_hi:[1,0] neg_lo:[0,1] neg_hi:[0,1]
	v_sub_f16_sdwa v12, v12, v9 dst_sel:DWORD dst_unused:UNUSED_PAD src0_sel:DWORD src1_sel:WORD_1
	v_sub_f16_e32 v9, v13, v9
	v_bfi_b32 v7, s0, v14, v7
	ds_write_b16 v11, v9 offset:2722
	ds_write_b32 v0, v7 offset:680
	ds_write_b16 v11, v12 offset:2720
	ds_read_b32 v7, v0 offset:1020
	ds_read_b32 v9, v11 offset:2380
	s_waitcnt lgkmcnt(0)
	v_pk_add_f16 v12, v7, v9 neg_lo:[0,1] neg_hi:[0,1]
	v_pk_add_f16 v7, v7, v9
	v_bfi_b32 v9, s0, v12, v7
	v_bfi_b32 v7, s0, v7, v12
	v_pk_mul_f16 v9, v9, 0.5 op_sel_hi:[1,0]
	v_pk_mul_f16 v7, v7, 0.5 op_sel_hi:[1,0]
	s_waitcnt vmcnt(1)
	v_pk_fma_f16 v12, v10, v9, v7 op_sel:[1,0,0]
	v_pk_mul_f16 v13, v10, v9 op_sel_hi:[0,1]
	v_pk_fma_f16 v14, v10, v9, v7 op_sel:[1,0,0] neg_lo:[1,0,0] neg_hi:[1,0,0]
	v_pk_fma_f16 v7, v10, v9, v7 op_sel:[1,0,0] neg_lo:[0,0,1] neg_hi:[0,0,1]
	v_pk_add_f16 v9, v12, v13 op_sel:[0,1] op_sel_hi:[1,0]
	v_pk_add_f16 v10, v12, v13 op_sel:[0,1] op_sel_hi:[1,0] neg_lo:[0,1] neg_hi:[0,1]
	v_pk_add_f16 v12, v14, v13 op_sel:[0,1] op_sel_hi:[1,0] neg_lo:[0,1] neg_hi:[0,1]
	v_pk_add_f16 v7, v7, v13 op_sel:[0,1] op_sel_hi:[1,0] neg_lo:[0,1] neg_hi:[0,1]
	v_bfi_b32 v9, s0, v9, v10
	v_bfi_b32 v7, s0, v12, v7
	ds_write_b32 v0, v9 offset:1020
	ds_write_b32 v11, v7 offset:2380
	ds_read_b32 v7, v0 offset:1360
	ds_read_b32 v9, v11 offset:2040
	s_waitcnt lgkmcnt(0)
	v_pk_add_f16 v10, v7, v9 neg_lo:[0,1] neg_hi:[0,1]
	v_pk_add_f16 v7, v7, v9
	v_bfi_b32 v9, s0, v10, v7
	v_bfi_b32 v7, s0, v7, v10
	v_pk_mul_f16 v9, v9, 0.5 op_sel_hi:[1,0]
	v_pk_mul_f16 v7, v7, 0.5 op_sel_hi:[1,0]
	s_waitcnt vmcnt(0)
	v_pk_fma_f16 v10, v6, v9, v7 op_sel:[1,0,0]
	v_pk_mul_f16 v12, v6, v9 op_sel_hi:[0,1]
	v_pk_fma_f16 v13, v6, v9, v7 op_sel:[1,0,0] neg_lo:[1,0,0] neg_hi:[1,0,0]
	v_pk_fma_f16 v6, v6, v9, v7 op_sel:[1,0,0] neg_lo:[0,0,1] neg_hi:[0,0,1]
	v_pk_add_f16 v7, v10, v12 op_sel:[0,1] op_sel_hi:[1,0]
	v_pk_add_f16 v9, v10, v12 op_sel:[0,1] op_sel_hi:[1,0] neg_lo:[0,1] neg_hi:[0,1]
	v_pk_add_f16 v10, v13, v12 op_sel:[0,1] op_sel_hi:[1,0] neg_lo:[0,1] neg_hi:[0,1]
	;; [unrolled: 1-line block ×3, first 2 shown]
	v_bfi_b32 v7, s0, v7, v9
	v_bfi_b32 v6, s0, v10, v6
	ds_write_b32 v0, v7 offset:1360
	ds_write_b32 v11, v6 offset:2040
	s_waitcnt lgkmcnt(0)
	s_barrier
	s_and_saveexec_b64 s[0:1], vcc
	s_cbranch_execz .LBB0_24
; %bb.22:
	v_mul_lo_u32 v0, s3, v3
	v_mul_lo_u32 v6, s2, v4
	v_mad_u64_u32 v[3:4], s[0:1], s2, v3, 0
	v_lshl_add_u32 v11, v5, 2, 0
	ds_read2_b32 v[9:10], v11 offset1:85
	v_add3_u32 v4, v4, v6, v0
	v_lshlrev_b64 v[3:4], 2, v[3:4]
	v_mov_b32_e32 v0, s11
	v_add_co_u32_e32 v3, vcc, s10, v3
	v_addc_co_u32_e32 v4, vcc, v0, v4, vcc
	v_lshlrev_b64 v[0:1], 2, v[1:2]
	v_mov_b32_e32 v6, v8
	v_add_co_u32_e32 v0, vcc, v3, v0
	v_lshlrev_b64 v[2:3], 2, v[5:6]
	v_addc_co_u32_e32 v1, vcc, v4, v1, vcc
	v_add_co_u32_e32 v2, vcc, v0, v2
	v_addc_co_u32_e32 v3, vcc, v1, v3, vcc
	v_add_u32_e32 v7, 0x55, v5
	s_waitcnt lgkmcnt(0)
	global_store_dword v[2:3], v9, off
	v_lshlrev_b64 v[2:3], 2, v[7:8]
	v_add_u32_e32 v7, 0xaa, v5
	v_add_co_u32_e32 v2, vcc, v0, v2
	v_addc_co_u32_e32 v3, vcc, v1, v3, vcc
	global_store_dword v[2:3], v10, off
	ds_read2_b32 v[2:3], v11 offset0:170 offset1:255
	v_lshlrev_b64 v[6:7], 2, v[7:8]
	s_movk_i32 s0, 0x54
	v_add_co_u32_e32 v6, vcc, v0, v6
	v_addc_co_u32_e32 v7, vcc, v1, v7, vcc
	s_waitcnt lgkmcnt(0)
	global_store_dword v[6:7], v2, off
	v_add_u32_e32 v7, 0xff, v5
	v_lshlrev_b64 v[6:7], 2, v[7:8]
	v_add_u32_e32 v2, 0x400, v11
	v_add_co_u32_e32 v6, vcc, v0, v6
	v_addc_co_u32_e32 v7, vcc, v1, v7, vcc
	global_store_dword v[6:7], v3, off
	v_add_u32_e32 v7, 0x154, v5
	ds_read2_b32 v[2:3], v2 offset0:84 offset1:169
	v_lshlrev_b64 v[6:7], 2, v[7:8]
	v_add_co_u32_e32 v6, vcc, v0, v6
	v_addc_co_u32_e32 v7, vcc, v1, v7, vcc
	s_waitcnt lgkmcnt(0)
	global_store_dword v[6:7], v2, off
	v_add_u32_e32 v7, 0x1a9, v5
	v_lshlrev_b64 v[6:7], 2, v[7:8]
	v_add_u32_e32 v2, 0x600, v11
	v_add_co_u32_e32 v6, vcc, v0, v6
	v_addc_co_u32_e32 v7, vcc, v1, v7, vcc
	global_store_dword v[6:7], v3, off
	v_add_u32_e32 v7, 0x1fe, v5
	ds_read2_b32 v[2:3], v2 offset0:126 offset1:211
	v_lshlrev_b64 v[6:7], 2, v[7:8]
	;; [unrolled: 13-line block ×3, first 2 shown]
	v_add_co_u32_e32 v6, vcc, v0, v6
	v_addc_co_u32_e32 v7, vcc, v1, v7, vcc
	s_waitcnt lgkmcnt(0)
	global_store_dword v[6:7], v2, off
	v_add_u32_e32 v7, 0x2fd, v5
	v_lshlrev_b64 v[6:7], 2, v[7:8]
	v_add_co_u32_e32 v6, vcc, v0, v6
	v_addc_co_u32_e32 v7, vcc, v1, v7, vcc
	v_cmp_eq_u32_e32 vcc, s0, v5
	global_store_dword v[6:7], v3, off
	s_and_b64 exec, exec, vcc
	s_cbranch_execz .LBB0_24
; %bb.23:
	v_mov_b32_e32 v2, 0
	ds_read_b32 v2, v2 offset:3400
	s_waitcnt lgkmcnt(0)
	global_store_dword v[0:1], v2, off offset:3400
.LBB0_24:
	s_endpgm
	.section	.rodata,"a",@progbits
	.p2align	6, 0x0
	.amdhsa_kernel fft_rtc_fwd_len850_factors_10_5_17_wgs_85_tpt_85_half_op_CI_CI_unitstride_sbrr_R2C_dirReg
		.amdhsa_group_segment_fixed_size 0
		.amdhsa_private_segment_fixed_size 0
		.amdhsa_kernarg_size 104
		.amdhsa_user_sgpr_count 6
		.amdhsa_user_sgpr_private_segment_buffer 1
		.amdhsa_user_sgpr_dispatch_ptr 0
		.amdhsa_user_sgpr_queue_ptr 0
		.amdhsa_user_sgpr_kernarg_segment_ptr 1
		.amdhsa_user_sgpr_dispatch_id 0
		.amdhsa_user_sgpr_flat_scratch_init 0
		.amdhsa_user_sgpr_private_segment_size 0
		.amdhsa_uses_dynamic_stack 0
		.amdhsa_system_sgpr_private_segment_wavefront_offset 0
		.amdhsa_system_sgpr_workgroup_id_x 1
		.amdhsa_system_sgpr_workgroup_id_y 0
		.amdhsa_system_sgpr_workgroup_id_z 0
		.amdhsa_system_sgpr_workgroup_info 0
		.amdhsa_system_vgpr_workitem_id 0
		.amdhsa_next_free_vgpr 203
		.amdhsa_next_free_sgpr 28
		.amdhsa_reserve_vcc 1
		.amdhsa_reserve_flat_scratch 0
		.amdhsa_float_round_mode_32 0
		.amdhsa_float_round_mode_16_64 0
		.amdhsa_float_denorm_mode_32 3
		.amdhsa_float_denorm_mode_16_64 3
		.amdhsa_dx10_clamp 1
		.amdhsa_ieee_mode 1
		.amdhsa_fp16_overflow 0
		.amdhsa_exception_fp_ieee_invalid_op 0
		.amdhsa_exception_fp_denorm_src 0
		.amdhsa_exception_fp_ieee_div_zero 0
		.amdhsa_exception_fp_ieee_overflow 0
		.amdhsa_exception_fp_ieee_underflow 0
		.amdhsa_exception_fp_ieee_inexact 0
		.amdhsa_exception_int_div_zero 0
	.end_amdhsa_kernel
	.text
.Lfunc_end0:
	.size	fft_rtc_fwd_len850_factors_10_5_17_wgs_85_tpt_85_half_op_CI_CI_unitstride_sbrr_R2C_dirReg, .Lfunc_end0-fft_rtc_fwd_len850_factors_10_5_17_wgs_85_tpt_85_half_op_CI_CI_unitstride_sbrr_R2C_dirReg
                                        ; -- End function
	.section	.AMDGPU.csdata,"",@progbits
; Kernel info:
; codeLenInByte = 11160
; NumSgprs: 32
; NumVgprs: 203
; ScratchSize: 0
; MemoryBound: 0
; FloatMode: 240
; IeeeMode: 1
; LDSByteSize: 0 bytes/workgroup (compile time only)
; SGPRBlocks: 3
; VGPRBlocks: 50
; NumSGPRsForWavesPerEU: 32
; NumVGPRsForWavesPerEU: 203
; Occupancy: 1
; WaveLimiterHint : 1
; COMPUTE_PGM_RSRC2:SCRATCH_EN: 0
; COMPUTE_PGM_RSRC2:USER_SGPR: 6
; COMPUTE_PGM_RSRC2:TRAP_HANDLER: 0
; COMPUTE_PGM_RSRC2:TGID_X_EN: 1
; COMPUTE_PGM_RSRC2:TGID_Y_EN: 0
; COMPUTE_PGM_RSRC2:TGID_Z_EN: 0
; COMPUTE_PGM_RSRC2:TIDIG_COMP_CNT: 0
	.type	__hip_cuid_460f7c3c1c96714d,@object ; @__hip_cuid_460f7c3c1c96714d
	.section	.bss,"aw",@nobits
	.globl	__hip_cuid_460f7c3c1c96714d
__hip_cuid_460f7c3c1c96714d:
	.byte	0                               ; 0x0
	.size	__hip_cuid_460f7c3c1c96714d, 1

	.ident	"AMD clang version 19.0.0git (https://github.com/RadeonOpenCompute/llvm-project roc-6.4.0 25133 c7fe45cf4b819c5991fe208aaa96edf142730f1d)"
	.section	".note.GNU-stack","",@progbits
	.addrsig
	.addrsig_sym __hip_cuid_460f7c3c1c96714d
	.amdgpu_metadata
---
amdhsa.kernels:
  - .args:
      - .actual_access:  read_only
        .address_space:  global
        .offset:         0
        .size:           8
        .value_kind:     global_buffer
      - .offset:         8
        .size:           8
        .value_kind:     by_value
      - .actual_access:  read_only
        .address_space:  global
        .offset:         16
        .size:           8
        .value_kind:     global_buffer
      - .actual_access:  read_only
        .address_space:  global
        .offset:         24
        .size:           8
        .value_kind:     global_buffer
      - .actual_access:  read_only
        .address_space:  global
        .offset:         32
        .size:           8
        .value_kind:     global_buffer
      - .offset:         40
        .size:           8
        .value_kind:     by_value
      - .actual_access:  read_only
        .address_space:  global
        .offset:         48
        .size:           8
        .value_kind:     global_buffer
      - .actual_access:  read_only
        .address_space:  global
        .offset:         56
        .size:           8
        .value_kind:     global_buffer
      - .offset:         64
        .size:           4
        .value_kind:     by_value
      - .actual_access:  read_only
        .address_space:  global
        .offset:         72
        .size:           8
        .value_kind:     global_buffer
      - .actual_access:  read_only
        .address_space:  global
        .offset:         80
        .size:           8
        .value_kind:     global_buffer
      - .actual_access:  read_only
        .address_space:  global
        .offset:         88
        .size:           8
        .value_kind:     global_buffer
      - .actual_access:  write_only
        .address_space:  global
        .offset:         96
        .size:           8
        .value_kind:     global_buffer
    .group_segment_fixed_size: 0
    .kernarg_segment_align: 8
    .kernarg_segment_size: 104
    .language:       OpenCL C
    .language_version:
      - 2
      - 0
    .max_flat_workgroup_size: 85
    .name:           fft_rtc_fwd_len850_factors_10_5_17_wgs_85_tpt_85_half_op_CI_CI_unitstride_sbrr_R2C_dirReg
    .private_segment_fixed_size: 0
    .sgpr_count:     32
    .sgpr_spill_count: 0
    .symbol:         fft_rtc_fwd_len850_factors_10_5_17_wgs_85_tpt_85_half_op_CI_CI_unitstride_sbrr_R2C_dirReg.kd
    .uniform_work_group_size: 1
    .uses_dynamic_stack: false
    .vgpr_count:     203
    .vgpr_spill_count: 0
    .wavefront_size: 64
amdhsa.target:   amdgcn-amd-amdhsa--gfx906
amdhsa.version:
  - 1
  - 2
...

	.end_amdgpu_metadata
